;; amdgpu-corpus repo=ROCm/rocFFT kind=compiled arch=gfx906 opt=O3
	.text
	.amdgcn_target "amdgcn-amd-amdhsa--gfx906"
	.amdhsa_code_object_version 6
	.protected	fft_rtc_fwd_len819_factors_9_7_13_wgs_117_tpt_117_dp_ip_CI_sbrr_dirReg ; -- Begin function fft_rtc_fwd_len819_factors_9_7_13_wgs_117_tpt_117_dp_ip_CI_sbrr_dirReg
	.globl	fft_rtc_fwd_len819_factors_9_7_13_wgs_117_tpt_117_dp_ip_CI_sbrr_dirReg
	.p2align	8
	.type	fft_rtc_fwd_len819_factors_9_7_13_wgs_117_tpt_117_dp_ip_CI_sbrr_dirReg,@function
fft_rtc_fwd_len819_factors_9_7_13_wgs_117_tpt_117_dp_ip_CI_sbrr_dirReg: ; @fft_rtc_fwd_len819_factors_9_7_13_wgs_117_tpt_117_dp_ip_CI_sbrr_dirReg
; %bb.0:
	s_load_dwordx2 s[2:3], s[4:5], 0x18
	s_load_dwordx4 s[8:11], s[4:5], 0x0
	s_load_dwordx2 s[14:15], s[4:5], 0x50
	v_mul_u32_u24_e32 v1, 0x231, v0
	v_add_u32_sdwa v5, s6, v1 dst_sel:DWORD dst_unused:UNUSED_PAD src0_sel:DWORD src1_sel:WORD_1
	s_waitcnt lgkmcnt(0)
	s_load_dwordx2 s[12:13], s[2:3], 0x0
	v_cmp_lt_u64_e64 s[0:1], s[10:11], 2
	v_mov_b32_e32 v3, 0
	v_mov_b32_e32 v1, 0
	;; [unrolled: 1-line block ×3, first 2 shown]
	s_and_b64 vcc, exec, s[0:1]
	v_mov_b32_e32 v2, 0
	s_cbranch_vccnz .LBB0_8
; %bb.1:
	s_load_dwordx2 s[0:1], s[4:5], 0x10
	s_add_u32 s6, s2, 8
	s_addc_u32 s7, s3, 0
	v_mov_b32_e32 v1, 0
	v_mov_b32_e32 v2, 0
	s_waitcnt lgkmcnt(0)
	s_add_u32 s16, s0, 8
	s_addc_u32 s17, s1, 0
	s_mov_b64 s[18:19], 1
.LBB0_2:                                ; =>This Inner Loop Header: Depth=1
	s_load_dwordx2 s[20:21], s[16:17], 0x0
                                        ; implicit-def: $vgpr7_vgpr8
	s_waitcnt lgkmcnt(0)
	v_or_b32_e32 v4, s21, v6
	v_cmp_ne_u64_e32 vcc, 0, v[3:4]
	s_and_saveexec_b64 s[0:1], vcc
	s_xor_b64 s[22:23], exec, s[0:1]
	s_cbranch_execz .LBB0_4
; %bb.3:                                ;   in Loop: Header=BB0_2 Depth=1
	v_cvt_f32_u32_e32 v4, s20
	v_cvt_f32_u32_e32 v7, s21
	s_sub_u32 s0, 0, s20
	s_subb_u32 s1, 0, s21
	v_mac_f32_e32 v4, 0x4f800000, v7
	v_rcp_f32_e32 v4, v4
	v_mul_f32_e32 v4, 0x5f7ffffc, v4
	v_mul_f32_e32 v7, 0x2f800000, v4
	v_trunc_f32_e32 v7, v7
	v_mac_f32_e32 v4, 0xcf800000, v7
	v_cvt_u32_f32_e32 v7, v7
	v_cvt_u32_f32_e32 v4, v4
	v_mul_lo_u32 v8, s0, v7
	v_mul_hi_u32 v9, s0, v4
	v_mul_lo_u32 v11, s1, v4
	v_mul_lo_u32 v10, s0, v4
	v_add_u32_e32 v8, v9, v8
	v_add_u32_e32 v8, v8, v11
	v_mul_hi_u32 v9, v4, v10
	v_mul_lo_u32 v11, v4, v8
	v_mul_hi_u32 v13, v4, v8
	v_mul_hi_u32 v12, v7, v10
	v_mul_lo_u32 v10, v7, v10
	v_mul_hi_u32 v14, v7, v8
	v_add_co_u32_e32 v9, vcc, v9, v11
	v_addc_co_u32_e32 v11, vcc, 0, v13, vcc
	v_mul_lo_u32 v8, v7, v8
	v_add_co_u32_e32 v9, vcc, v9, v10
	v_addc_co_u32_e32 v9, vcc, v11, v12, vcc
	v_addc_co_u32_e32 v10, vcc, 0, v14, vcc
	v_add_co_u32_e32 v8, vcc, v9, v8
	v_addc_co_u32_e32 v9, vcc, 0, v10, vcc
	v_add_co_u32_e32 v4, vcc, v4, v8
	v_addc_co_u32_e32 v7, vcc, v7, v9, vcc
	v_mul_lo_u32 v8, s0, v7
	v_mul_hi_u32 v9, s0, v4
	v_mul_lo_u32 v10, s1, v4
	v_mul_lo_u32 v11, s0, v4
	v_add_u32_e32 v8, v9, v8
	v_add_u32_e32 v8, v8, v10
	v_mul_lo_u32 v12, v4, v8
	v_mul_hi_u32 v13, v4, v11
	v_mul_hi_u32 v14, v4, v8
	;; [unrolled: 1-line block ×3, first 2 shown]
	v_mul_lo_u32 v11, v7, v11
	v_mul_hi_u32 v9, v7, v8
	v_add_co_u32_e32 v12, vcc, v13, v12
	v_addc_co_u32_e32 v13, vcc, 0, v14, vcc
	v_mul_lo_u32 v8, v7, v8
	v_add_co_u32_e32 v11, vcc, v12, v11
	v_addc_co_u32_e32 v10, vcc, v13, v10, vcc
	v_addc_co_u32_e32 v9, vcc, 0, v9, vcc
	v_add_co_u32_e32 v8, vcc, v10, v8
	v_addc_co_u32_e32 v9, vcc, 0, v9, vcc
	v_add_co_u32_e32 v4, vcc, v4, v8
	v_addc_co_u32_e32 v9, vcc, v7, v9, vcc
	v_mad_u64_u32 v[7:8], s[0:1], v5, v9, 0
	v_mul_hi_u32 v10, v5, v4
	v_add_co_u32_e32 v11, vcc, v10, v7
	v_addc_co_u32_e32 v12, vcc, 0, v8, vcc
	v_mad_u64_u32 v[7:8], s[0:1], v6, v4, 0
	v_mad_u64_u32 v[9:10], s[0:1], v6, v9, 0
	v_add_co_u32_e32 v4, vcc, v11, v7
	v_addc_co_u32_e32 v4, vcc, v12, v8, vcc
	v_addc_co_u32_e32 v7, vcc, 0, v10, vcc
	v_add_co_u32_e32 v4, vcc, v4, v9
	v_addc_co_u32_e32 v9, vcc, 0, v7, vcc
	v_mul_lo_u32 v10, s21, v4
	v_mul_lo_u32 v11, s20, v9
	v_mad_u64_u32 v[7:8], s[0:1], s20, v4, 0
	v_add3_u32 v8, v8, v11, v10
	v_sub_u32_e32 v10, v6, v8
	v_mov_b32_e32 v11, s21
	v_sub_co_u32_e32 v7, vcc, v5, v7
	v_subb_co_u32_e64 v10, s[0:1], v10, v11, vcc
	v_subrev_co_u32_e64 v11, s[0:1], s20, v7
	v_subbrev_co_u32_e64 v10, s[0:1], 0, v10, s[0:1]
	v_cmp_le_u32_e64 s[0:1], s21, v10
	v_cndmask_b32_e64 v12, 0, -1, s[0:1]
	v_cmp_le_u32_e64 s[0:1], s20, v11
	v_cndmask_b32_e64 v11, 0, -1, s[0:1]
	v_cmp_eq_u32_e64 s[0:1], s21, v10
	v_cndmask_b32_e64 v10, v12, v11, s[0:1]
	v_add_co_u32_e64 v11, s[0:1], 2, v4
	v_addc_co_u32_e64 v12, s[0:1], 0, v9, s[0:1]
	v_add_co_u32_e64 v13, s[0:1], 1, v4
	v_addc_co_u32_e64 v14, s[0:1], 0, v9, s[0:1]
	v_subb_co_u32_e32 v8, vcc, v6, v8, vcc
	v_cmp_ne_u32_e64 s[0:1], 0, v10
	v_cmp_le_u32_e32 vcc, s21, v8
	v_cndmask_b32_e64 v10, v14, v12, s[0:1]
	v_cndmask_b32_e64 v12, 0, -1, vcc
	v_cmp_le_u32_e32 vcc, s20, v7
	v_cndmask_b32_e64 v7, 0, -1, vcc
	v_cmp_eq_u32_e32 vcc, s21, v8
	v_cndmask_b32_e32 v7, v12, v7, vcc
	v_cmp_ne_u32_e32 vcc, 0, v7
	v_cndmask_b32_e64 v7, v13, v11, s[0:1]
	v_cndmask_b32_e32 v8, v9, v10, vcc
	v_cndmask_b32_e32 v7, v4, v7, vcc
.LBB0_4:                                ;   in Loop: Header=BB0_2 Depth=1
	s_andn2_saveexec_b64 s[0:1], s[22:23]
	s_cbranch_execz .LBB0_6
; %bb.5:                                ;   in Loop: Header=BB0_2 Depth=1
	v_cvt_f32_u32_e32 v4, s20
	s_sub_i32 s22, 0, s20
	v_rcp_iflag_f32_e32 v4, v4
	v_mul_f32_e32 v4, 0x4f7ffffe, v4
	v_cvt_u32_f32_e32 v4, v4
	v_mul_lo_u32 v7, s22, v4
	v_mul_hi_u32 v7, v4, v7
	v_add_u32_e32 v4, v4, v7
	v_mul_hi_u32 v4, v5, v4
	v_mul_lo_u32 v7, v4, s20
	v_add_u32_e32 v8, 1, v4
	v_sub_u32_e32 v7, v5, v7
	v_subrev_u32_e32 v9, s20, v7
	v_cmp_le_u32_e32 vcc, s20, v7
	v_cndmask_b32_e32 v7, v7, v9, vcc
	v_cndmask_b32_e32 v4, v4, v8, vcc
	v_add_u32_e32 v8, 1, v4
	v_cmp_le_u32_e32 vcc, s20, v7
	v_cndmask_b32_e32 v7, v4, v8, vcc
	v_mov_b32_e32 v8, v3
.LBB0_6:                                ;   in Loop: Header=BB0_2 Depth=1
	s_or_b64 exec, exec, s[0:1]
	v_mul_lo_u32 v4, v8, s20
	v_mul_lo_u32 v11, v7, s21
	v_mad_u64_u32 v[9:10], s[0:1], v7, s20, 0
	s_load_dwordx2 s[0:1], s[6:7], 0x0
	s_add_u32 s18, s18, 1
	v_add3_u32 v4, v10, v11, v4
	v_sub_co_u32_e32 v5, vcc, v5, v9
	v_subb_co_u32_e32 v4, vcc, v6, v4, vcc
	s_waitcnt lgkmcnt(0)
	v_mul_lo_u32 v4, s0, v4
	v_mul_lo_u32 v6, s1, v5
	v_mad_u64_u32 v[1:2], s[0:1], s0, v5, v[1:2]
	s_addc_u32 s19, s19, 0
	s_add_u32 s6, s6, 8
	v_add3_u32 v2, v6, v2, v4
	v_mov_b32_e32 v4, s10
	v_mov_b32_e32 v5, s11
	s_addc_u32 s7, s7, 0
	v_cmp_ge_u64_e32 vcc, s[18:19], v[4:5]
	s_add_u32 s16, s16, 8
	s_addc_u32 s17, s17, 0
	s_cbranch_vccnz .LBB0_9
; %bb.7:                                ;   in Loop: Header=BB0_2 Depth=1
	v_mov_b32_e32 v5, v7
	v_mov_b32_e32 v6, v8
	s_branch .LBB0_2
.LBB0_8:
	v_mov_b32_e32 v8, v6
	v_mov_b32_e32 v7, v5
.LBB0_9:
	s_lshl_b64 s[0:1], s[10:11], 3
	s_add_u32 s0, s2, s0
	s_addc_u32 s1, s3, s1
	s_load_dwordx2 s[2:3], s[0:1], 0x0
	s_load_dwordx2 s[6:7], s[4:5], 0x20
                                        ; implicit-def: $vgpr34_vgpr35
                                        ; implicit-def: $vgpr22_vgpr23
                                        ; implicit-def: $vgpr14_vgpr15
                                        ; implicit-def: $vgpr18_vgpr19
                                        ; implicit-def: $vgpr10_vgpr11
                                        ; implicit-def: $vgpr26_vgpr27
                                        ; implicit-def: $vgpr30_vgpr31
	s_waitcnt lgkmcnt(0)
	v_mad_u64_u32 v[1:2], s[0:1], s2, v7, v[1:2]
	s_mov_b32 s0, 0x2302303
	v_mul_lo_u32 v3, s2, v8
	v_mul_lo_u32 v4, s3, v7
	v_mul_hi_u32 v5, v0, s0
	v_cmp_gt_u64_e32 vcc, s[6:7], v[7:8]
	s_movk_i32 s0, 0x5b
	v_add3_u32 v2, v4, v2, v3
	v_mul_u32_u24_e32 v3, 0x75, v5
	v_sub_u32_e32 v130, v0, v3
	v_cmp_gt_u32_e64 s[0:1], s0, v130
	v_lshlrev_b64 v[68:69], 4, v[1:2]
	s_and_b64 s[2:3], vcc, s[0:1]
                                        ; implicit-def: $vgpr6_vgpr7
                                        ; implicit-def: $vgpr2_vgpr3
	s_and_saveexec_b64 s[4:5], s[2:3]
	s_cbranch_execz .LBB0_11
; %bb.10:
	v_mad_u64_u32 v[0:1], s[2:3], s12, v130, 0
	v_add_u32_e32 v5, 0x5b, v130
	v_mov_b32_e32 v4, s15
	v_mad_u64_u32 v[1:2], s[2:3], s13, v130, v[1:2]
	v_mad_u64_u32 v[2:3], s[2:3], s12, v5, 0
	v_add_co_u32_e64 v12, s[2:3], s14, v68
	v_addc_co_u32_e64 v13, s[2:3], v4, v69, s[2:3]
	v_mad_u64_u32 v[3:4], s[2:3], s13, v5, v[3:4]
	v_add_u32_e32 v8, 0xb6, v130
	v_mad_u64_u32 v[4:5], s[2:3], s12, v8, 0
	v_lshlrev_b64 v[0:1], 4, v[0:1]
	v_add_co_u32_e64 v6, s[2:3], v12, v0
	v_addc_co_u32_e64 v7, s[2:3], v13, v1, s[2:3]
	v_lshlrev_b64 v[0:1], 4, v[2:3]
	v_mov_b32_e32 v2, v5
	v_mad_u64_u32 v[2:3], s[2:3], s13, v8, v[2:3]
	v_add_u32_e32 v3, 0x111, v130
	v_mad_u64_u32 v[8:9], s[2:3], s12, v3, 0
	v_add_co_u32_e64 v10, s[2:3], v12, v0
	v_mov_b32_e32 v5, v2
	v_mov_b32_e32 v2, v9
	v_addc_co_u32_e64 v11, s[2:3], v13, v1, s[2:3]
	v_lshlrev_b64 v[0:1], 4, v[4:5]
	v_mad_u64_u32 v[2:3], s[2:3], s13, v3, v[2:3]
	v_add_u32_e32 v5, 0x16c, v130
	v_mad_u64_u32 v[3:4], s[2:3], s12, v5, 0
	v_add_co_u32_e64 v36, s[2:3], v12, v0
	v_mov_b32_e32 v9, v2
	v_mov_b32_e32 v2, v4
	v_addc_co_u32_e64 v37, s[2:3], v13, v1, s[2:3]
	v_mad_u64_u32 v[4:5], s[2:3], s13, v5, v[2:3]
	v_add_u32_e32 v5, 0x1c7, v130
	v_lshlrev_b64 v[0:1], 4, v[8:9]
	v_mad_u64_u32 v[8:9], s[2:3], s12, v5, 0
	v_add_co_u32_e64 v38, s[2:3], v12, v0
	v_mov_b32_e32 v2, v9
	v_addc_co_u32_e64 v39, s[2:3], v13, v1, s[2:3]
	v_lshlrev_b64 v[0:1], 4, v[3:4]
	v_mad_u64_u32 v[2:3], s[2:3], s13, v5, v[2:3]
	v_add_u32_e32 v5, 0x222, v130
	v_mad_u64_u32 v[3:4], s[2:3], s12, v5, 0
	v_add_co_u32_e64 v40, s[2:3], v12, v0
	v_mov_b32_e32 v9, v2
	v_mov_b32_e32 v2, v4
	v_addc_co_u32_e64 v41, s[2:3], v13, v1, s[2:3]
	v_mad_u64_u32 v[4:5], s[2:3], s13, v5, v[2:3]
	v_add_u32_e32 v5, 0x27d, v130
	v_lshlrev_b64 v[0:1], 4, v[8:9]
	v_mad_u64_u32 v[8:9], s[2:3], s12, v5, 0
	v_add_co_u32_e64 v42, s[2:3], v12, v0
	v_mov_b32_e32 v2, v9
	v_addc_co_u32_e64 v43, s[2:3], v13, v1, s[2:3]
	v_lshlrev_b64 v[0:1], 4, v[3:4]
	v_mad_u64_u32 v[2:3], s[2:3], s13, v5, v[2:3]
	v_add_u32_e32 v3, 0x2d8, v130
	v_mad_u64_u32 v[4:5], s[2:3], s12, v3, 0
	v_add_co_u32_e64 v44, s[2:3], v12, v0
	v_mov_b32_e32 v9, v2
	v_mov_b32_e32 v2, v5
	v_addc_co_u32_e64 v45, s[2:3], v13, v1, s[2:3]
	v_mad_u64_u32 v[2:3], s[2:3], s13, v3, v[2:3]
	v_lshlrev_b64 v[0:1], 4, v[8:9]
	v_mov_b32_e32 v5, v2
	v_add_co_u32_e64 v46, s[2:3], v12, v0
	v_lshlrev_b64 v[4:5], 4, v[4:5]
	v_addc_co_u32_e64 v47, s[2:3], v13, v1, s[2:3]
	v_add_co_u32_e64 v48, s[2:3], v12, v4
	global_load_dwordx4 v[0:3], v[6:7], off
	global_load_dwordx4 v[28:31], v[10:11], off
	v_addc_co_u32_e64 v49, s[2:3], v13, v5, s[2:3]
	global_load_dwordx4 v[24:27], v[36:37], off
	global_load_dwordx4 v[8:11], v[38:39], off
	global_load_dwordx4 v[16:19], v[40:41], off
	global_load_dwordx4 v[12:15], v[42:43], off
	global_load_dwordx4 v[4:7], v[44:45], off
	global_load_dwordx4 v[20:23], v[46:47], off
	global_load_dwordx4 v[32:35], v[48:49], off
.LBB0_11:
	s_or_b64 exec, exec, s[4:5]
	s_waitcnt vmcnt(0)
	v_add_f64 v[36:37], v[28:29], -v[32:33]
	s_mov_b32 s5, 0x3fe491b7
	s_mov_b32 s4, 0x523c161c
	v_add_f64 v[28:29], v[32:33], v[28:29]
	v_add_f64 v[38:39], v[34:35], v[30:31]
	v_add_f64 v[32:33], v[30:31], -v[34:35]
	v_add_f64 v[30:31], v[24:25], -v[20:21]
	s_mov_b32 s16, 0x8c811c17
	v_mul_f64 v[40:41], v[36:37], s[4:5]
	s_mov_b32 s17, 0x3fef838b
	v_add_f64 v[42:43], v[20:21], v[24:25]
	v_add_f64 v[46:47], v[22:23], v[26:27]
	v_add_f64 v[34:35], v[26:27], -v[22:23]
	v_add_f64 v[56:57], v[8:9], -v[4:5]
	v_mul_f64 v[20:21], v[32:33], s[4:5]
	v_add_f64 v[48:49], v[16:17], -v[12:13]
	v_fma_f64 v[22:23], v[30:31], s[16:17], v[40:41]
	v_add_f64 v[50:51], v[18:19], -v[14:15]
	v_add_f64 v[52:53], v[12:13], v[16:17]
	v_add_f64 v[58:59], v[14:15], v[18:19]
	s_mov_b32 s2, 0xe8584cab
	s_mov_b32 s20, 0xa2cf5039
	;; [unrolled: 1-line block ×4, first 2 shown]
	v_add_f64 v[40:41], v[4:5], v[8:9]
	v_add_f64 v[44:45], v[6:7], v[10:11]
	v_add_f64 v[54:55], v[10:11], -v[6:7]
	v_fma_f64 v[4:5], v[34:35], s[16:17], v[20:21]
	v_fma_f64 v[6:7], v[56:57], s[2:3], v[22:23]
	;; [unrolled: 1-line block ×4, first 2 shown]
	v_mul_f64 v[20:21], v[48:49], s[4:5]
	v_mul_f64 v[22:23], v[50:51], s[4:5]
	v_fma_f64 v[24:25], v[52:53], s[20:21], v[0:1]
	v_fma_f64 v[26:27], v[58:59], s[20:21], v[2:3]
	s_mov_b32 s22, 0x7e0b738b
	s_mov_b32 s23, 0x3fc63a1a
	v_fma_f64 v[8:9], v[42:43], s[22:23], v[8:9]
	v_fma_f64 v[10:11], v[46:47], s[22:23], v[10:11]
	v_fma_f64 v[20:21], v[36:37], s[16:17], -v[20:21]
	v_fma_f64 v[22:23], v[32:33], s[16:17], -v[22:23]
	v_fma_f64 v[24:25], v[28:29], s[22:23], v[24:25]
	v_fma_f64 v[26:27], v[38:39], s[22:23], v[26:27]
	s_mov_b32 s19, 0xbfebb67a
	s_mov_b32 s18, s2
	v_fma_f64 v[4:5], v[54:55], s[2:3], v[4:5]
	v_fma_f64 v[8:9], v[40:41], -0.5, v[8:9]
	v_fma_f64 v[10:11], v[44:45], -0.5, v[10:11]
	v_fma_f64 v[20:21], v[56:57], s[18:19], v[20:21]
	v_fma_f64 v[22:23], v[54:55], s[18:19], v[22:23]
	v_fma_f64 v[24:25], v[40:41], -0.5, v[24:25]
	v_fma_f64 v[26:27], v[44:45], -0.5, v[26:27]
	s_mov_b32 s10, 0x748a0bf8
	s_mov_b32 s24, 0x42522d1b
	;; [unrolled: 1-line block ×4, first 2 shown]
	v_fma_f64 v[6:7], v[48:49], s[10:11], v[6:7]
	v_fma_f64 v[4:5], v[50:51], s[10:11], v[4:5]
	v_fma_f64 v[8:9], v[52:53], s[24:25], v[8:9]
	v_fma_f64 v[10:11], v[58:59], s[24:25], v[10:11]
	v_fma_f64 v[60:61], v[30:31], s[10:11], v[20:21]
	v_fma_f64 v[62:63], v[34:35], s[10:11], v[22:23]
	v_fma_f64 v[20:21], v[42:43], s[24:25], v[24:25]
	v_fma_f64 v[22:23], v[46:47], s[24:25], v[26:27]
	v_add_f64 v[24:25], v[4:5], v[8:9]
	v_add_f64 v[26:27], v[10:11], -v[6:7]
	v_add_f64 v[20:21], v[62:63], v[20:21]
	v_add_f64 v[22:23], v[22:23], -v[60:61]
	v_fma_f64 v[8:9], v[4:5], -2.0, v[24:25]
	v_fma_f64 v[10:11], v[6:7], 2.0, v[26:27]
	v_fma_f64 v[4:5], v[62:63], -2.0, v[20:21]
	v_fma_f64 v[6:7], v[60:61], 2.0, v[22:23]
	s_and_saveexec_b64 s[6:7], s[0:1]
	s_cbranch_execz .LBB0_13
; %bb.12:
	v_mul_f64 v[60:61], v[48:49], s[16:17]
	v_fma_f64 v[62:63], v[46:47], s[20:21], v[2:3]
	v_mul_f64 v[66:67], v[50:51], s[16:17]
	v_fma_f64 v[70:71], v[42:43], s[20:21], v[0:1]
	s_mov_b32 s5, 0xbfe491b7
	v_mul_f64 v[56:57], v[56:57], s[2:3]
	v_mul_f64 v[64:65], v[44:45], 0.5
	v_add_f64 v[46:47], v[46:47], v[38:39]
	v_fma_f64 v[60:61], v[30:31], s[4:5], -v[60:61]
	v_fma_f64 v[62:63], v[58:59], s[22:23], v[62:63]
	v_add_f64 v[42:43], v[42:43], v[28:29]
	v_mul_f64 v[54:55], v[54:55], s[2:3]
	v_mul_f64 v[72:73], v[40:41], 0.5
	v_fma_f64 v[66:67], v[34:35], s[4:5], -v[66:67]
	v_fma_f64 v[70:71], v[52:53], s[22:23], v[70:71]
	v_add_f64 v[48:49], v[48:49], v[36:37]
	v_add_f64 v[56:57], v[56:57], v[60:61]
	v_add_f64 v[60:61], v[62:63], -v[64:65]
	v_add_f64 v[62:63], v[44:45], v[2:3]
	v_add_f64 v[44:45], v[44:45], v[46:47]
	;; [unrolled: 1-line block ×4, first 2 shown]
	v_add_f64 v[66:67], v[70:71], -v[72:73]
	v_add_f64 v[46:47], v[58:59], v[46:47]
	v_add_f64 v[50:51], v[50:51], v[32:33]
	v_add_f64 v[40:41], v[40:41], v[0:1]
	v_add_f64 v[42:43], v[52:53], v[42:43]
	v_add_f64 v[18:19], v[18:19], v[44:45]
	v_add_f64 v[44:45], v[16:17], v[64:65]
	v_fma_f64 v[36:37], v[36:37], s[10:11], v[56:57]
	v_fma_f64 v[38:39], v[38:39], s[24:25], v[60:61]
	;; [unrolled: 1-line block ×4, first 2 shown]
	v_add_f64 v[30:31], v[48:49], -v[30:31]
	v_fma_f64 v[46:47], v[46:47], -0.5, v[62:63]
	v_add_f64 v[34:35], v[50:51], -v[34:35]
	v_fma_f64 v[40:41], v[42:43], -0.5, v[40:41]
	v_add_f64 v[18:19], v[14:15], v[18:19]
	v_add_f64 v[12:13], v[12:13], v[44:45]
	v_add_f64 v[16:17], v[38:39], -v[36:37]
	v_add_f64 v[14:15], v[32:33], v[28:29]
	v_mul_f64 v[38:39], v[30:31], s[2:3]
	v_fma_f64 v[30:31], v[30:31], s[18:19], v[46:47]
	v_mul_f64 v[42:43], v[34:35], s[2:3]
	v_fma_f64 v[28:29], v[34:35], s[2:3], v[40:41]
	v_add_f64 v[2:3], v[2:3], v[18:19]
	v_add_f64 v[0:1], v[0:1], v[12:13]
	v_fma_f64 v[34:35], v[36:37], 2.0, v[16:17]
	v_fma_f64 v[32:33], v[32:33], -2.0, v[14:15]
	s_movk_i32 s0, 0x90
	v_fma_f64 v[38:39], v[38:39], 2.0, v[30:31]
	v_mad_u32_u24 v12, v130, s0, 0
	v_fma_f64 v[36:37], v[42:43], -2.0, v[28:29]
	ds_write_b128 v12, v[0:3]
	ds_write_b128 v12, v[24:27] offset:16
	ds_write_b128 v12, v[20:23] offset:32
	;; [unrolled: 1-line block ×8, first 2 shown]
.LBB0_13:
	s_or_b64 exec, exec, s[6:7]
	v_mov_b32_e32 v0, 57
	v_mul_lo_u16_sdwa v0, v130, v0 dst_sel:DWORD dst_unused:UNUSED_PAD src0_sel:BYTE_0 src1_sel:DWORD
	v_lshrrev_b16_e32 v61, 9, v0
	v_mul_lo_u16_e32 v0, 9, v61
	v_sub_u16_e32 v62, v130, v0
	v_mov_b32_e32 v0, 6
	v_mul_u32_u24_sdwa v0, v62, v0 dst_sel:DWORD dst_unused:UNUSED_PAD src0_sel:BYTE_0 src1_sel:DWORD
	v_lshlrev_b32_e32 v32, 4, v0
	s_waitcnt lgkmcnt(0)
	s_barrier
	global_load_dwordx4 v[0:3], v32, s[8:9]
	global_load_dwordx4 v[12:15], v32, s[8:9] offset:16
	global_load_dwordx4 v[16:19], v32, s[8:9] offset:32
	;; [unrolled: 1-line block ×5, first 2 shown]
	v_lshl_add_u32 v48, v130, 4, 0
	ds_read_b128 v[32:35], v48
	ds_read_b128 v[36:39], v48 offset:1872
	ds_read_b128 v[40:43], v48 offset:3744
	ds_read_b128 v[44:47], v48 offset:5616
	ds_read_b128 v[49:52], v48 offset:7488
	ds_read_b128 v[53:56], v48 offset:9360
	ds_read_b128 v[57:60], v48 offset:11232
	v_mov_b32_e32 v63, 4
	v_mul_u32_u24_e32 v61, 0x3f0, v61
	v_lshlrev_b32_sdwa v62, v63, v62 dst_sel:DWORD dst_unused:UNUSED_PAD src0_sel:DWORD src1_sel:BYTE_0
	v_add3_u32 v67, 0, v61, v62
	s_mov_b32 s2, 0x37e14327
	s_mov_b32 s0, 0x36b3c0b5
	;; [unrolled: 1-line block ×16, first 2 shown]
	s_waitcnt vmcnt(0) lgkmcnt(0)
	s_barrier
	v_mul_f64 v[61:62], v[38:39], v[2:3]
	v_mul_f64 v[2:3], v[36:37], v[2:3]
	;; [unrolled: 1-line block ×12, first 2 shown]
	v_fma_f64 v[36:37], v[36:37], v[0:1], -v[61:62]
	v_fma_f64 v[0:1], v[38:39], v[0:1], v[2:3]
	v_fma_f64 v[2:3], v[40:41], v[12:13], -v[63:64]
	v_fma_f64 v[12:13], v[42:43], v[12:13], v[14:15]
	;; [unrolled: 2-line block ×6, first 2 shown]
	v_add_f64 v[22:23], v[36:37], v[14:15]
	v_add_f64 v[38:39], v[0:1], v[24:25]
	v_add_f64 v[14:15], v[36:37], -v[14:15]
	v_add_f64 v[0:1], v[0:1], -v[24:25]
	v_add_f64 v[24:25], v[2:3], v[18:19]
	v_add_f64 v[36:37], v[12:13], v[28:29]
	v_add_f64 v[2:3], v[2:3], -v[18:19]
	v_add_f64 v[12:13], v[12:13], -v[28:29]
	;; [unrolled: 4-line block ×4, first 2 shown]
	v_add_f64 v[24:25], v[18:19], -v[24:25]
	v_add_f64 v[38:39], v[38:39], -v[28:29]
	;; [unrolled: 1-line block ×3, first 2 shown]
	v_add_f64 v[44:45], v[26:27], v[2:3]
	v_add_f64 v[46:47], v[16:17], v[12:13]
	v_add_f64 v[49:50], v[26:27], -v[2:3]
	v_add_f64 v[51:52], v[16:17], -v[12:13]
	;; [unrolled: 1-line block ×5, first 2 shown]
	v_add_f64 v[18:19], v[18:19], v[20:21]
	v_add_f64 v[20:21], v[28:29], v[30:31]
	v_add_f64 v[26:27], v[14:15], -v[26:27]
	v_add_f64 v[16:17], v[0:1], -v[16:17]
	v_add_f64 v[14:15], v[44:45], v[14:15]
	v_add_f64 v[28:29], v[46:47], v[0:1]
	v_mul_f64 v[30:31], v[38:39], s[2:3]
	v_mul_f64 v[38:39], v[24:25], s[0:1]
	;; [unrolled: 1-line block ×8, first 2 shown]
	v_add_f64 v[0:1], v[32:33], v[18:19]
	v_add_f64 v[2:3], v[34:35], v[20:21]
	v_fma_f64 v[32:33], v[36:37], s[0:1], v[30:31]
	v_fma_f64 v[34:35], v[40:41], s[16:17], -v[38:39]
	v_fma_f64 v[36:37], v[42:43], s[16:17], -v[44:45]
	s_mov_b32 s17, 0xbfe77f67
	v_fma_f64 v[38:39], v[26:27], s[18:19], v[46:47]
	v_fma_f64 v[44:45], v[16:17], s[18:19], v[49:50]
	s_mov_b32 s19, 0xbfd5d0dc
	v_fma_f64 v[24:25], v[24:25], s[0:1], v[22:23]
	v_fma_f64 v[46:47], v[53:54], s[4:5], -v[46:47]
	v_fma_f64 v[12:13], v[12:13], s[4:5], -v[49:50]
	;; [unrolled: 1-line block ×6, first 2 shown]
	v_fma_f64 v[18:19], v[18:19], s[6:7], v[0:1]
	v_fma_f64 v[20:21], v[20:21], s[6:7], v[2:3]
	;; [unrolled: 1-line block ×8, first 2 shown]
	v_add_f64 v[49:50], v[24:25], v[18:19]
	v_add_f64 v[51:52], v[32:33], v[20:21]
	;; [unrolled: 1-line block ×6, first 2 shown]
	v_cmp_gt_u32_e64 s[0:1], 63, v130
	v_add_f64 v[12:13], v[40:41], v[49:50]
	v_add_f64 v[14:15], v[51:52], -v[38:39]
	v_add_f64 v[16:17], v[28:29], v[32:33]
	v_add_f64 v[18:19], v[30:31], -v[46:47]
	v_add_f64 v[20:21], v[24:25], -v[44:45]
	v_add_f64 v[22:23], v[42:43], v[26:27]
	v_add_f64 v[24:25], v[44:45], v[24:25]
	v_add_f64 v[26:27], v[26:27], -v[42:43]
	v_add_f64 v[28:29], v[32:33], -v[28:29]
	v_add_f64 v[30:31], v[46:47], v[30:31]
	v_add_f64 v[32:33], v[49:50], -v[40:41]
	v_add_f64 v[34:35], v[38:39], v[51:52]
	ds_write_b128 v67, v[0:3]
	ds_write_b128 v67, v[12:15] offset:144
	ds_write_b128 v67, v[16:19] offset:288
	ds_write_b128 v67, v[20:23] offset:432
	ds_write_b128 v67, v[24:27] offset:576
	ds_write_b128 v67, v[28:31] offset:720
	ds_write_b128 v67, v[32:35] offset:864
	s_waitcnt lgkmcnt(0)
	s_barrier
	s_waitcnt lgkmcnt(0)
                                        ; implicit-def: $vgpr50_vgpr51
                                        ; implicit-def: $vgpr46_vgpr47
                                        ; implicit-def: $vgpr38_vgpr39
                                        ; implicit-def: $vgpr42_vgpr43
	s_and_saveexec_b64 s[2:3], s[0:1]
	s_cbranch_execnz .LBB0_16
; %bb.14:
	s_or_b64 exec, exec, s[2:3]
	s_and_b64 s[0:1], vcc, s[0:1]
	s_and_saveexec_b64 s[2:3], s[0:1]
	s_cbranch_execnz .LBB0_17
.LBB0_15:
	s_endpgm
.LBB0_16:
	ds_read_b128 v[0:3], v48
	ds_read_b128 v[12:15], v48 offset:1008
	ds_read_b128 v[16:19], v48 offset:2016
	;; [unrolled: 1-line block ×12, first 2 shown]
	s_or_b64 exec, exec, s[2:3]
	s_and_b64 s[0:1], vcc, s[0:1]
	s_and_saveexec_b64 s[2:3], s[0:1]
	s_cbranch_execz .LBB0_15
.LBB0_17:
	v_mul_u32_u24_e32 v52, 12, v130
	v_lshlrev_b32_e32 v70, 4, v52
	global_load_dwordx4 v[56:59], v70, s[8:9] offset:944
	global_load_dwordx4 v[52:55], v70, s[8:9] offset:960
	;; [unrolled: 1-line block ×12, first 2 shown]
	s_mov_b32 s0, 0x93053d00
	s_mov_b32 s2, 0x4bc48dbf
	;; [unrolled: 1-line block ×36, first 2 shown]
	s_waitcnt vmcnt(11) lgkmcnt(6)
	v_mul_f64 v[70:71], v[34:35], v[56:57]
	v_mul_f64 v[34:35], v[34:35], v[58:59]
	s_waitcnt vmcnt(10) lgkmcnt(5)
	v_mul_f64 v[72:73], v[6:7], v[52:53]
	s_waitcnt vmcnt(8) lgkmcnt(4)
	v_mul_f64 v[82:83], v[10:11], v[60:61]
	v_mul_f64 v[10:11], v[10:11], v[62:63]
	s_waitcnt vmcnt(6) lgkmcnt(3)
	v_mul_f64 v[104:105], v[42:43], v[84:85]
	v_mul_f64 v[42:43], v[42:43], v[86:87]
	s_waitcnt vmcnt(4)
	v_mul_f64 v[116:117], v[14:15], v[96:97]
	s_waitcnt vmcnt(3) lgkmcnt(0)
	v_mul_f64 v[122:123], v[50:51], v[100:101]
	v_mul_f64 v[110:111], v[18:19], v[92:93]
	;; [unrolled: 1-line block ×3, first 2 shown]
	s_waitcnt vmcnt(2)
	v_mul_f64 v[124:125], v[46:47], v[106:107]
	v_mul_f64 v[128:129], v[50:51], v[102:103]
	s_waitcnt vmcnt(1)
	v_mul_f64 v[133:134], v[22:23], v[112:113]
	v_mul_f64 v[22:23], v[22:23], v[114:115]
	v_fma_f64 v[70:71], v[32:33], v[58:59], v[70:71]
	v_fma_f64 v[58:59], v[32:33], v[56:57], -v[34:35]
	v_fma_f64 v[126:127], v[12:13], v[98:99], v[116:117]
	v_fma_f64 v[32:33], v[48:49], v[102:103], v[122:123]
	v_mul_f64 v[18:19], v[18:19], v[94:95]
	v_mul_f64 v[131:132], v[46:47], v[108:109]
	s_waitcnt vmcnt(0)
	v_mul_f64 v[135:136], v[38:39], v[118:119]
	v_fma_f64 v[46:47], v[40:41], v[86:87], v[104:105]
	v_fma_f64 v[42:43], v[40:41], v[84:85], -v[42:43]
	v_fma_f64 v[110:111], v[16:17], v[94:95], v[110:111]
	v_fma_f64 v[116:117], v[12:13], v[96:97], -v[14:15]
	;; [unrolled: 2-line block ×3, first 2 shown]
	v_fma_f64 v[100:101], v[20:21], v[112:113], -v[22:23]
	v_add_f64 v[128:129], v[126:127], v[32:33]
	v_add_f64 v[112:113], v[126:127], -v[32:33]
	v_mul_f64 v[6:7], v[6:7], v[54:55]
	v_mul_f64 v[88:89], v[26:27], v[76:77]
	;; [unrolled: 1-line block ×4, first 2 shown]
	v_fma_f64 v[56:57], v[4:5], v[54:55], v[72:73]
	v_fma_f64 v[54:55], v[8:9], v[62:63], v[82:83]
	v_fma_f64 v[50:51], v[8:9], v[60:61], -v[10:11]
	v_fma_f64 v[104:105], v[16:17], v[92:93], -v[18:19]
	;; [unrolled: 1-line block ×3, first 2 shown]
	v_fma_f64 v[106:107], v[20:21], v[114:115], v[133:134]
	v_fma_f64 v[44:45], v[36:37], v[120:121], v[135:136]
	v_add_f64 v[122:123], v[110:111], v[40:41]
	v_add_f64 v[98:99], v[116:117], -v[34:35]
	v_add_f64 v[92:93], v[116:117], v[34:35]
	v_add_f64 v[102:103], v[110:111], -v[40:41]
	v_mul_f64 v[8:9], v[128:129], s[0:1]
	v_mul_f64 v[10:11], v[112:113], s[6:7]
	;; [unrolled: 1-line block ×3, first 2 shown]
	v_fma_f64 v[90:91], v[24:25], v[78:79], v[88:89]
	v_fma_f64 v[82:83], v[24:25], v[76:77], -v[26:27]
	v_fma_f64 v[36:37], v[36:37], v[118:119], -v[137:138]
	v_add_f64 v[76:77], v[104:105], -v[38:39]
	v_add_f64 v[78:79], v[104:105], v[38:39]
	v_add_f64 v[120:121], v[106:107], v[44:45]
	v_add_f64 v[96:97], v[106:107], -v[44:45]
	v_mul_f64 v[12:13], v[122:123], s[4:5]
	v_mul_f64 v[14:15], v[102:103], s[24:25]
	v_fma_f64 v[16:17], v[98:99], s[2:3], v[8:9]
	v_fma_f64 v[18:19], v[92:93], s[0:1], v[10:11]
	v_mul_f64 v[30:31], v[30:31], v[66:67]
	v_fma_f64 v[80:81], v[28:29], v[66:67], v[74:75]
	v_add_f64 v[66:67], v[100:101], -v[36:37]
	v_add_f64 v[72:73], v[100:101], v[36:37]
	v_add_f64 v[118:119], v[90:91], v[46:47]
	v_add_f64 v[88:89], v[90:91], -v[46:47]
	v_mul_f64 v[20:21], v[120:121], s[10:11]
	v_mul_f64 v[22:23], v[96:97], s[16:17]
	v_fma_f64 v[24:25], v[76:77], s[8:9], v[12:13]
	v_fma_f64 v[26:27], v[78:79], s[4:5], v[14:15]
	v_add_f64 v[16:17], v[2:3], v[16:17]
	v_add_f64 v[18:19], v[0:1], v[18:19]
	v_fma_f64 v[74:75], v[28:29], v[64:65], -v[30:31]
	v_add_f64 v[48:49], v[82:83], -v[42:43]
	v_add_f64 v[60:61], v[82:83], v[42:43]
	v_add_f64 v[114:115], v[80:81], v[54:55]
	v_add_f64 v[84:85], v[80:81], -v[54:55]
	v_mul_f64 v[28:29], v[118:119], s[18:19]
	v_mul_f64 v[30:31], v[88:89], s[28:29]
	v_fma_f64 v[86:87], v[66:67], s[22:23], v[20:21]
	v_fma_f64 v[94:95], v[72:73], s[10:11], v[22:23]
	v_add_f64 v[16:17], v[24:25], v[16:17]
	v_add_f64 v[18:19], v[26:27], v[18:19]
	v_add_f64 v[64:65], v[74:75], -v[50:51]
	v_add_f64 v[62:63], v[74:75], v[50:51]
	v_mul_f64 v[24:25], v[114:115], s[26:27]
	v_mul_f64 v[26:27], v[84:85], s[30:31]
	v_fma_f64 v[108:109], v[48:49], s[20:21], v[28:29]
	v_fma_f64 v[124:125], v[60:61], s[18:19], v[30:31]
	v_add_f64 v[16:17], v[86:87], v[16:17]
	v_add_f64 v[18:19], v[94:95], v[18:19]
	v_fma_f64 v[94:95], v[4:5], v[52:53], -v[6:7]
	v_add_f64 v[52:53], v[70:71], v[56:57]
	v_fma_f64 v[4:5], v[64:65], s[38:39], v[24:25]
	v_fma_f64 v[6:7], v[62:63], s[26:27], v[26:27]
	v_fma_f64 v[8:9], v[98:99], s[6:7], v[8:9]
	v_fma_f64 v[10:11], v[92:93], s[0:1], -v[10:11]
	v_add_f64 v[16:17], v[108:109], v[16:17]
	v_add_f64 v[18:19], v[124:125], v[18:19]
	v_add_f64 v[86:87], v[58:59], -v[94:95]
	v_mul_f64 v[131:132], v[52:53], s[34:35]
	v_fma_f64 v[12:13], v[76:77], s[24:25], v[12:13]
	v_fma_f64 v[22:23], v[72:73], s[10:11], -v[22:23]
	v_add_f64 v[8:9], v[2:3], v[8:9]
	v_add_f64 v[10:11], v[0:1], v[10:11]
	;; [unrolled: 1-line block ×4, first 2 shown]
	v_fma_f64 v[6:7], v[78:79], s[4:5], -v[14:15]
	v_fma_f64 v[14:15], v[86:87], s[36:37], v[131:132]
	v_mul_f64 v[18:19], v[128:129], s[10:11]
	v_add_f64 v[108:109], v[70:71], -v[56:57]
	v_add_f64 v[8:9], v[12:13], v[8:9]
	v_fma_f64 v[12:13], v[66:67], s[16:17], v[20:21]
	v_add_f64 v[124:125], v[58:59], v[94:95]
	v_mul_f64 v[135:136], v[120:121], s[18:19]
	v_add_f64 v[10:11], v[6:7], v[10:11]
	v_add_f64 v[6:7], v[14:15], v[4:5]
	v_fma_f64 v[4:5], v[98:99], s[22:23], v[18:19]
	v_mul_f64 v[14:15], v[122:123], s[34:35]
	v_mul_f64 v[20:21], v[108:109], s[40:41]
	v_add_f64 v[8:9], v[12:13], v[8:9]
	v_fma_f64 v[12:13], v[48:49], s[28:29], v[28:29]
	v_mul_f64 v[28:29], v[112:113], s[16:17]
	v_add_f64 v[10:11], v[22:23], v[10:11]
	v_fma_f64 v[22:23], v[60:61], s[18:19], -v[30:31]
	v_add_f64 v[4:5], v[2:3], v[4:5]
	v_fma_f64 v[30:31], v[76:77], s[36:37], v[14:15]
	v_mul_f64 v[137:138], v[102:103], s[40:41]
	v_fma_f64 v[24:25], v[64:65], s[30:31], v[24:25]
	v_add_f64 v[8:9], v[12:13], v[8:9]
	v_fma_f64 v[12:13], v[92:93], s[10:11], v[28:29]
	v_fma_f64 v[133:134], v[124:125], s[34:35], v[20:21]
	v_add_f64 v[10:11], v[22:23], v[10:11]
	v_fma_f64 v[22:23], v[62:63], s[26:27], -v[26:27]
	v_add_f64 v[4:5], v[30:31], v[4:5]
	v_fma_f64 v[26:27], v[66:67], s[28:29], v[135:136]
	v_mul_f64 v[30:31], v[118:119], s[0:1]
	v_fma_f64 v[139:140], v[78:79], s[34:35], v[137:138]
	v_add_f64 v[12:13], v[0:1], v[12:13]
	v_mul_f64 v[141:142], v[96:97], s[20:21]
	v_add_f64 v[8:9], v[24:25], v[8:9]
	v_add_f64 v[22:23], v[22:23], v[10:11]
	v_fma_f64 v[10:11], v[86:87], s[40:41], v[131:132]
	v_fma_f64 v[20:21], v[124:125], s[34:35], -v[20:21]
	v_add_f64 v[24:25], v[26:27], v[4:5]
	v_fma_f64 v[26:27], v[48:49], s[6:7], v[30:31]
	v_add_f64 v[12:13], v[139:140], v[12:13]
	v_fma_f64 v[131:132], v[72:73], s[18:19], v[141:142]
	v_add_f64 v[4:5], v[133:134], v[16:17]
	v_mul_f64 v[16:17], v[88:89], s[2:3]
	v_add_f64 v[10:11], v[10:11], v[8:9]
	v_add_f64 v[8:9], v[20:21], v[22:23]
	v_fma_f64 v[18:19], v[98:99], s[16:17], v[18:19]
	v_mul_f64 v[20:21], v[114:115], s[4:5]
	v_add_f64 v[22:23], v[26:27], v[24:25]
	v_add_f64 v[12:13], v[131:132], v[12:13]
	v_fma_f64 v[24:25], v[92:93], s[10:11], -v[28:29]
	v_fma_f64 v[26:27], v[60:61], s[0:1], v[16:17]
	v_mul_f64 v[28:29], v[84:85], s[24:25]
	v_fma_f64 v[14:15], v[76:77], s[40:41], v[14:15]
	v_add_f64 v[18:19], v[2:3], v[18:19]
	v_fma_f64 v[131:132], v[64:65], s[8:9], v[20:21]
	v_mul_f64 v[133:134], v[52:53], s[26:27]
	v_fma_f64 v[137:138], v[78:79], s[34:35], -v[137:138]
	v_add_f64 v[24:25], v[0:1], v[24:25]
	v_add_f64 v[12:13], v[26:27], v[12:13]
	v_fma_f64 v[26:27], v[62:63], s[4:5], v[28:29]
	v_mul_f64 v[139:140], v[108:109], s[30:31]
	v_add_f64 v[14:15], v[14:15], v[18:19]
	v_fma_f64 v[18:19], v[66:67], s[20:21], v[135:136]
	v_add_f64 v[22:23], v[131:132], v[22:23]
	v_fma_f64 v[131:132], v[86:87], s[38:39], v[133:134]
	v_add_f64 v[24:25], v[137:138], v[24:25]
	v_fma_f64 v[135:136], v[72:73], s[18:19], -v[141:142]
	v_add_f64 v[12:13], v[26:27], v[12:13]
	v_fma_f64 v[26:27], v[124:125], s[26:27], v[139:140]
	v_mul_f64 v[137:138], v[128:129], s[26:27]
	v_add_f64 v[18:19], v[18:19], v[14:15]
	v_fma_f64 v[30:31], v[48:49], s[2:3], v[30:31]
	v_add_f64 v[14:15], v[131:132], v[22:23]
	v_mul_f64 v[22:23], v[112:113], s[30:31]
	v_add_f64 v[24:25], v[135:136], v[24:25]
	v_fma_f64 v[16:17], v[60:61], s[0:1], -v[16:17]
	v_add_f64 v[12:13], v[26:27], v[12:13]
	v_fma_f64 v[26:27], v[98:99], s[38:39], v[137:138]
	v_mul_f64 v[131:132], v[122:123], s[10:11]
	v_add_f64 v[18:19], v[30:31], v[18:19]
	v_fma_f64 v[20:21], v[64:65], s[24:25], v[20:21]
	v_fma_f64 v[30:31], v[92:93], s[26:27], v[22:23]
	v_mul_f64 v[135:136], v[102:103], s[22:23]
	v_add_f64 v[16:17], v[16:17], v[24:25]
	v_fma_f64 v[24:25], v[62:63], s[4:5], -v[28:29]
	v_add_f64 v[26:27], v[2:3], v[26:27]
	v_fma_f64 v[28:29], v[76:77], s[16:17], v[131:132]
	v_mul_f64 v[141:142], v[120:121], s[4:5]
	v_add_f64 v[18:19], v[20:21], v[18:19]
	v_add_f64 v[20:21], v[0:1], v[30:31]
	v_fma_f64 v[30:31], v[78:79], s[10:11], v[135:136]
	v_mul_f64 v[143:144], v[96:97], s[24:25]
	v_fma_f64 v[133:134], v[86:87], s[30:31], v[133:134]
	v_add_f64 v[16:17], v[24:25], v[16:17]
	v_add_f64 v[24:25], v[28:29], v[26:27]
	v_fma_f64 v[26:27], v[66:67], s[8:9], v[141:142]
	v_mul_f64 v[28:29], v[118:119], s[34:35]
	v_fma_f64 v[22:23], v[92:93], s[26:27], -v[22:23]
	v_add_f64 v[20:21], v[30:31], v[20:21]
	v_fma_f64 v[30:31], v[72:73], s[4:5], v[143:144]
	v_add_f64 v[18:19], v[133:134], v[18:19]
	v_fma_f64 v[133:134], v[98:99], s[30:31], v[137:138]
	v_mul_f64 v[137:138], v[88:89], s[36:37]
	v_add_f64 v[24:25], v[26:27], v[24:25]
	v_fma_f64 v[26:27], v[48:49], s[40:41], v[28:29]
	v_mul_f64 v[145:146], v[114:115], s[0:1]
	v_mul_f64 v[147:148], v[84:85], s[2:3]
	v_add_f64 v[20:21], v[30:31], v[20:21]
	v_fma_f64 v[30:31], v[76:77], s[22:23], v[131:132]
	v_add_f64 v[131:132], v[2:3], v[133:134]
	v_fma_f64 v[133:134], v[60:61], s[34:35], v[137:138]
	v_fma_f64 v[135:136], v[78:79], s[10:11], -v[135:136]
	v_add_f64 v[22:23], v[0:1], v[22:23]
	v_add_f64 v[24:25], v[26:27], v[24:25]
	v_fma_f64 v[26:27], v[64:65], s[6:7], v[145:146]
	v_mul_f64 v[149:150], v[52:53], s[18:19]
	v_fma_f64 v[28:29], v[48:49], s[36:37], v[28:29]
	v_add_f64 v[30:31], v[30:31], v[131:132]
	v_fma_f64 v[131:132], v[66:67], s[24:25], v[141:142]
	v_add_f64 v[20:21], v[133:134], v[20:21]
	;; [unrolled: 2-line block ×3, first 2 shown]
	v_fma_f64 v[135:136], v[72:73], s[4:5], -v[143:144]
	v_add_f64 v[24:25], v[26:27], v[24:25]
	v_fma_f64 v[26:27], v[86:87], s[20:21], v[149:150]
	v_fma_f64 v[139:140], v[124:125], s[26:27], -v[139:140]
	v_add_f64 v[30:31], v[131:132], v[30:31]
	v_mul_f64 v[131:132], v[128:129], s[34:35]
	v_add_f64 v[20:21], v[133:134], v[20:21]
	v_mul_f64 v[151:152], v[120:121], s[26:27]
	v_add_f64 v[133:134], v[135:136], v[22:23]
	v_fma_f64 v[135:136], v[60:61], s[34:35], -v[137:138]
	v_add_f64 v[22:23], v[26:27], v[24:25]
	v_mul_f64 v[137:138], v[112:113], s[36:37]
	v_add_f64 v[26:27], v[28:29], v[30:31]
	v_fma_f64 v[28:29], v[98:99], s[40:41], v[131:132]
	v_mul_f64 v[30:31], v[122:123], s[0:1]
	v_add_f64 v[16:17], v[139:140], v[16:17]
	v_mul_f64 v[24:25], v[108:109], s[28:29]
	v_fma_f64 v[139:140], v[64:65], s[2:3], v[145:146]
	v_add_f64 v[133:134], v[135:136], v[133:134]
	v_fma_f64 v[135:136], v[62:63], s[0:1], -v[147:148]
	v_fma_f64 v[143:144], v[92:93], s[34:35], v[137:138]
	v_mul_f64 v[145:146], v[102:103], s[6:7]
	v_add_f64 v[28:29], v[2:3], v[28:29]
	v_fma_f64 v[147:148], v[76:77], s[2:3], v[30:31]
	v_fma_f64 v[141:142], v[124:125], s[18:19], v[24:25]
	v_add_f64 v[26:27], v[139:140], v[26:27]
	v_mul_f64 v[153:154], v[118:119], s[4:5]
	v_add_f64 v[133:134], v[135:136], v[133:134]
	v_fma_f64 v[135:136], v[86:87], s[28:29], v[149:150]
	v_add_f64 v[139:140], v[0:1], v[143:144]
	v_fma_f64 v[143:144], v[78:79], s[0:1], v[145:146]
	v_mul_f64 v[149:150], v[96:97], s[38:39]
	v_add_f64 v[28:29], v[147:148], v[28:29]
	v_fma_f64 v[147:148], v[66:67], s[30:31], v[151:152]
	v_fma_f64 v[24:25], v[124:125], s[18:19], -v[24:25]
	v_add_f64 v[20:21], v[141:142], v[20:21]
	v_add_f64 v[26:27], v[135:136], v[26:27]
	v_mul_f64 v[141:142], v[88:89], s[24:25]
	v_add_f64 v[135:136], v[143:144], v[139:140]
	v_fma_f64 v[139:140], v[72:73], s[26:27], v[149:150]
	v_fma_f64 v[143:144], v[48:49], s[8:9], v[153:154]
	v_add_f64 v[28:29], v[147:148], v[28:29]
	v_fma_f64 v[131:132], v[98:99], s[36:37], v[131:132]
	v_fma_f64 v[137:138], v[92:93], s[34:35], -v[137:138]
	v_add_f64 v[24:25], v[24:25], v[133:134]
	v_mul_f64 v[133:134], v[114:115], s[18:19]
	v_mul_f64 v[147:148], v[84:85], s[20:21]
	v_add_f64 v[135:136], v[139:140], v[135:136]
	v_fma_f64 v[139:140], v[60:61], s[4:5], v[141:142]
	v_add_f64 v[28:29], v[143:144], v[28:29]
	v_fma_f64 v[30:31], v[76:77], s[6:7], v[30:31]
	v_add_f64 v[131:132], v[2:3], v[131:132]
	v_fma_f64 v[143:144], v[78:79], s[0:1], -v[145:146]
	v_add_f64 v[137:138], v[0:1], v[137:138]
	v_fma_f64 v[145:146], v[64:65], s[28:29], v[133:134]
	v_mul_f64 v[155:156], v[52:53], s[10:11]
	v_add_f64 v[135:136], v[139:140], v[135:136]
	v_fma_f64 v[139:140], v[62:63], s[18:19], v[147:148]
	v_mul_f64 v[157:158], v[108:109], s[16:17]
	v_add_f64 v[30:31], v[30:31], v[131:132]
	v_fma_f64 v[131:132], v[66:67], s[38:39], v[151:152]
	v_add_f64 v[137:138], v[143:144], v[137:138]
	v_fma_f64 v[143:144], v[72:73], s[26:27], -v[149:150]
	v_add_f64 v[28:29], v[145:146], v[28:29]
	v_mul_f64 v[149:150], v[128:129], s[18:19]
	v_add_f64 v[135:136], v[139:140], v[135:136]
	v_fma_f64 v[139:140], v[86:87], s[22:23], v[155:156]
	v_fma_f64 v[145:146], v[124:125], s[10:11], v[157:158]
	v_add_f64 v[131:132], v[131:132], v[30:31]
	v_fma_f64 v[151:152], v[48:49], s[24:25], v[153:154]
	v_add_f64 v[137:138], v[143:144], v[137:138]
	v_fma_f64 v[141:142], v[60:61], s[4:5], -v[141:142]
	v_mul_f64 v[143:144], v[112:113], s[20:21]
	v_fma_f64 v[133:134], v[64:65], s[20:21], v[133:134]
	v_add_f64 v[30:31], v[139:140], v[28:29]
	v_add_f64 v[28:29], v[145:146], v[135:136]
	v_fma_f64 v[135:136], v[98:99], s[28:29], v[149:150]
	v_mul_f64 v[139:140], v[122:123], s[26:27]
	v_add_f64 v[131:132], v[151:152], v[131:132]
	v_add_f64 v[137:138], v[141:142], v[137:138]
	v_fma_f64 v[141:142], v[92:93], s[18:19], v[143:144]
	v_mul_f64 v[145:146], v[102:103], s[30:31]
	v_fma_f64 v[147:148], v[62:63], s[18:19], -v[147:148]
	v_mul_f64 v[153:154], v[120:121], s[0:1]
	v_add_f64 v[135:136], v[2:3], v[135:136]
	v_fma_f64 v[151:152], v[76:77], s[38:39], v[139:140]
	v_add_f64 v[131:132], v[133:134], v[131:132]
	v_fma_f64 v[133:134], v[86:87], s[16:17], v[155:156]
	;; [unrolled: 2-line block ×3, first 2 shown]
	v_add_f64 v[137:138], v[147:148], v[137:138]
	v_mul_f64 v[147:148], v[96:97], s[6:7]
	v_add_f64 v[126:127], v[2:3], v[126:127]
	v_add_f64 v[135:136], v[151:152], v[135:136]
	v_fma_f64 v[151:152], v[66:67], s[2:3], v[153:154]
	v_mul_f64 v[159:160], v[118:119], s[10:11]
	v_add_f64 v[133:134], v[133:134], v[131:132]
	v_add_f64 v[131:132], v[155:156], v[141:142]
	v_fma_f64 v[141:142], v[98:99], s[20:21], v[149:150]
	v_fma_f64 v[149:150], v[72:73], s[0:1], v[147:148]
	v_mul_f64 v[155:156], v[88:89], s[22:23]
	v_add_f64 v[116:117], v[0:1], v[116:117]
	v_add_f64 v[110:111], v[110:111], v[126:127]
	;; [unrolled: 1-line block ×3, first 2 shown]
	v_fma_f64 v[151:152], v[48:49], s[16:17], v[159:160]
	v_mul_f64 v[161:162], v[114:115], s[34:35]
	v_fma_f64 v[139:140], v[76:77], s[30:31], v[139:140]
	v_fma_f64 v[143:144], v[92:93], s[18:19], -v[143:144]
	v_add_f64 v[141:142], v[2:3], v[141:142]
	v_add_f64 v[131:132], v[149:150], v[131:132]
	v_fma_f64 v[149:150], v[60:61], s[10:11], v[155:156]
	v_mul_f64 v[163:164], v[84:85], s[40:41]
	v_add_f64 v[116:117], v[104:105], v[116:117]
	v_add_f64 v[110:111], v[106:107], v[110:111]
	;; [unrolled: 1-line block ×3, first 2 shown]
	v_fma_f64 v[151:152], v[64:65], s[36:37], v[161:162]
	v_fma_f64 v[145:146], v[78:79], s[26:27], -v[145:146]
	v_add_f64 v[143:144], v[0:1], v[143:144]
	v_add_f64 v[139:140], v[139:140], v[141:142]
	v_fma_f64 v[141:142], v[66:67], s[6:7], v[153:154]
	v_add_f64 v[131:132], v[149:150], v[131:132]
	v_fma_f64 v[149:150], v[62:63], s[34:35], v[163:164]
	v_mul_f64 v[153:154], v[52:53], s[4:5]
	v_mul_f64 v[165:166], v[108:109], s[24:25]
	v_add_f64 v[100:101], v[100:101], v[116:117]
	v_add_f64 v[90:91], v[90:91], v[110:111]
	v_fma_f64 v[157:158], v[124:125], s[10:11], -v[157:158]
	v_add_f64 v[135:136], v[151:152], v[135:136]
	v_add_f64 v[143:144], v[145:146], v[143:144]
	v_fma_f64 v[145:146], v[72:73], s[0:1], -v[147:148]
	v_add_f64 v[139:140], v[141:142], v[139:140]
	v_fma_f64 v[141:142], v[48:49], s[22:23], v[159:160]
	v_add_f64 v[147:148], v[149:150], v[131:132]
	v_fma_f64 v[149:150], v[86:87], s[8:9], v[153:154]
	v_fma_f64 v[151:152], v[124:125], s[4:5], v[165:166]
	v_mul_f64 v[128:129], v[128:129], s[4:5]
	v_mul_f64 v[112:113], v[112:113], s[8:9]
	v_add_f64 v[82:83], v[82:83], v[100:101]
	v_add_f64 v[80:81], v[80:81], v[90:91]
	;; [unrolled: 1-line block ×4, first 2 shown]
	v_fma_f64 v[141:142], v[64:65], s[40:41], v[161:162]
	v_add_f64 v[137:138], v[149:150], v[135:136]
	v_add_f64 v[135:136], v[151:152], v[147:148]
	v_fma_f64 v[147:148], v[98:99], s[24:25], v[128:129]
	v_mul_f64 v[122:123], v[122:123], s[18:19]
	v_fma_f64 v[116:117], v[92:93], s[4:5], v[112:113]
	v_mul_f64 v[102:103], v[102:103], s[20:21]
	v_add_f64 v[74:75], v[74:75], v[82:83]
	v_fma_f64 v[98:99], v[98:99], s[8:9], v[128:129]
	v_fma_f64 v[92:93], v[92:93], s[4:5], -v[112:113]
	v_add_f64 v[70:71], v[70:71], v[80:81]
	v_add_f64 v[139:140], v[141:142], v[139:140]
	v_fma_f64 v[141:142], v[86:87], s[24:25], v[153:154]
	v_add_f64 v[126:127], v[2:3], v[147:148]
	v_fma_f64 v[147:148], v[76:77], s[28:29], v[122:123]
	v_mul_f64 v[120:121], v[120:121], s[34:35]
	v_add_f64 v[100:101], v[0:1], v[116:117]
	v_fma_f64 v[90:91], v[78:79], s[18:19], v[102:103]
	v_mul_f64 v[96:97], v[96:97], s[36:37]
	v_add_f64 v[58:59], v[58:59], v[74:75]
	v_add_f64 v[2:3], v[2:3], v[98:99]
	v_fma_f64 v[74:75], v[76:77], s[20:21], v[122:123]
	v_add_f64 v[0:1], v[0:1], v[92:93]
	v_fma_f64 v[76:77], v[78:79], s[18:19], -v[102:103]
	v_add_f64 v[56:57], v[56:57], v[70:71]
	v_add_f64 v[106:107], v[141:142], v[139:140]
	v_add_f64 v[126:127], v[147:148], v[126:127]
	v_fma_f64 v[139:140], v[66:67], s[40:41], v[120:121]
	v_mul_f64 v[118:119], v[118:119], s[26:27]
	v_add_f64 v[80:81], v[90:91], v[100:101]
	v_fma_f64 v[82:83], v[72:73], s[34:35], v[96:97]
	v_mul_f64 v[88:89], v[88:89], s[30:31]
	v_add_f64 v[58:59], v[94:95], v[58:59]
	v_fma_f64 v[66:67], v[66:67], s[36:37], v[120:121]
	v_add_f64 v[2:3], v[74:75], v[2:3]
	v_fma_f64 v[72:73], v[72:73], s[34:35], -v[96:97]
	v_add_f64 v[0:1], v[76:77], v[0:1]
	v_add_f64 v[54:55], v[54:55], v[56:57]
	;; [unrolled: 1-line block ×3, first 2 shown]
	v_fma_f64 v[126:127], v[48:49], s[38:39], v[118:119]
	v_mul_f64 v[114:115], v[114:115], s[10:11]
	v_add_f64 v[70:71], v[82:83], v[80:81]
	v_fma_f64 v[78:79], v[60:61], s[26:27], v[88:89]
	v_mul_f64 v[80:81], v[84:85], s[16:17]
	v_add_f64 v[50:51], v[50:51], v[58:59]
	v_fma_f64 v[48:49], v[48:49], s[30:31], v[118:119]
	v_add_f64 v[2:3], v[66:67], v[2:3]
	v_add_f64 v[143:144], v[145:146], v[143:144]
	v_fma_f64 v[145:146], v[60:61], s[10:11], -v[155:156]
	v_fma_f64 v[58:59], v[60:61], s[26:27], -v[88:89]
	v_add_f64 v[0:1], v[72:73], v[0:1]
	v_add_f64 v[46:47], v[46:47], v[54:55]
	;; [unrolled: 1-line block ×3, first 2 shown]
	v_fma_f64 v[112:113], v[64:65], s[22:23], v[114:115]
	v_add_f64 v[56:57], v[78:79], v[70:71]
	v_fma_f64 v[70:71], v[62:63], s[10:11], v[80:81]
	v_mul_f64 v[52:53], v[52:53], s[0:1]
	v_add_f64 v[42:43], v[42:43], v[50:51]
	v_fma_f64 v[60:61], v[64:65], s[16:17], v[114:115]
	v_add_f64 v[48:49], v[48:49], v[2:3]
	v_add_f64 v[143:144], v[145:146], v[143:144]
	v_fma_f64 v[145:146], v[62:63], s[34:35], -v[163:164]
	v_mul_f64 v[50:51], v[108:109], s[6:7]
	v_fma_f64 v[62:63], v[62:63], s[10:11], -v[80:81]
	v_add_f64 v[0:1], v[58:59], v[0:1]
	v_add_f64 v[44:45], v[44:45], v[46:47]
	;; [unrolled: 1-line block ×4, first 2 shown]
	v_fma_f64 v[56:57], v[86:87], s[2:3], v[52:53]
	v_add_f64 v[36:37], v[36:37], v[42:43]
	v_fma_f64 v[46:47], v[86:87], s[6:7], v[52:53]
	v_add_f64 v[48:49], v[60:61], v[48:49]
	v_fma_f64 v[42:43], v[124:125], s[0:1], v[50:51]
	v_fma_f64 v[50:51], v[124:125], s[0:1], -v[50:51]
	v_add_f64 v[52:53], v[62:63], v[0:1]
	v_add_f64 v[40:41], v[40:41], v[44:45]
	v_mad_u64_u32 v[44:45], s[0:1], s12, v130, 0
	v_add_f64 v[2:3], v[56:57], v[90:91]
	v_add_f64 v[56:57], v[38:39], v[36:37]
	v_mov_b32_e32 v36, v45
	v_add_f64 v[38:39], v[46:47], v[48:49]
	v_mad_u64_u32 v[45:46], s[0:1], s13, v130, v[36:37]
	v_add_f64 v[36:37], v[50:51], v[52:53]
	v_add_f64 v[0:1], v[42:43], v[54:55]
	;; [unrolled: 1-line block ×3, first 2 shown]
	v_mov_b32_e32 v32, s15
	v_add_co_u32_e32 v47, vcc, s14, v68
	v_addc_co_u32_e32 v48, vcc, v32, v69, vcc
	v_lshlrev_b64 v[32:33], 4, v[44:45]
	v_add_u32_e32 v44, 63, v130
	v_add_f64 v[40:41], v[34:35], v[56:57]
	v_mad_u64_u32 v[34:35], s[0:1], s12, v44, 0
	v_add_u32_e32 v49, 0x7e, v130
	v_add_f64 v[143:144], v[145:146], v[143:144]
	v_mad_u64_u32 v[44:45], s[0:1], s13, v44, v[35:36]
	v_mad_u64_u32 v[45:46], s[0:1], s12, v49, 0
	v_fma_f64 v[145:146], v[124:125], s[4:5], -v[165:166]
	v_add_co_u32_e32 v32, vcc, v47, v32
	v_addc_co_u32_e32 v33, vcc, v48, v33, vcc
	v_mov_b32_e32 v35, v44
	global_store_dwordx4 v[32:33], v[40:43], off
	v_lshlrev_b64 v[32:33], 4, v[34:35]
	v_mov_b32_e32 v34, v46
	v_mad_u64_u32 v[34:35], s[0:1], s13, v49, v[34:35]
	v_add_co_u32_e32 v32, vcc, v47, v32
	v_addc_co_u32_e32 v33, vcc, v48, v33, vcc
	global_store_dwordx4 v[32:33], v[36:39], off
	v_mov_b32_e32 v46, v34
	v_add_u32_e32 v36, 0xbd, v130
	v_mad_u64_u32 v[34:35], s[0:1], s12, v36, 0
	v_add_f64 v[104:105], v[145:146], v[143:144]
	v_add_u32_e32 v38, 0xfc, v130
	v_mad_u64_u32 v[35:36], s[0:1], s13, v36, v[35:36]
	v_lshlrev_b64 v[32:33], 4, v[45:46]
	v_mad_u64_u32 v[36:37], s[0:1], s12, v38, 0
	v_add_co_u32_e32 v32, vcc, v47, v32
	v_addc_co_u32_e32 v33, vcc, v48, v33, vcc
	global_store_dwordx4 v[32:33], v[104:107], off
	v_lshlrev_b64 v[32:33], 4, v[34:35]
	v_mov_b32_e32 v34, v37
	v_mad_u64_u32 v[34:35], s[0:1], s13, v38, v[34:35]
	v_add_co_u32_e32 v32, vcc, v47, v32
	v_addc_co_u32_e32 v33, vcc, v48, v33, vcc
	v_mov_b32_e32 v37, v34
	global_store_dwordx4 v[32:33], v[131:134], off
	v_lshlrev_b64 v[32:33], 4, v[36:37]
	v_add_u32_e32 v36, 0x13b, v130
	v_mad_u64_u32 v[34:35], s[0:1], s12, v36, 0
	v_add_co_u32_e32 v32, vcc, v47, v32
	v_mad_u64_u32 v[35:36], s[0:1], s13, v36, v[35:36]
	v_addc_co_u32_e32 v33, vcc, v48, v33, vcc
	v_add_u32_e32 v38, 0x17a, v130
	v_mad_u64_u32 v[36:37], s[0:1], s12, v38, 0
	global_store_dwordx4 v[32:33], v[24:27], off
	s_nop 0
	v_lshlrev_b64 v[24:25], 4, v[34:35]
	v_mov_b32_e32 v26, v37
	v_add_co_u32_e32 v24, vcc, v47, v24
	v_addc_co_u32_e32 v25, vcc, v48, v25, vcc
	global_store_dwordx4 v[24:25], v[16:19], off
	v_add_u32_e32 v24, 0x1b9, v130
	v_mad_u64_u32 v[26:27], s[0:1], s13, v38, v[26:27]
	v_mad_u64_u32 v[18:19], s[0:1], s12, v24, 0
	v_mov_b32_e32 v37, v26
	v_lshlrev_b64 v[16:17], 4, v[36:37]
	v_mad_u64_u32 v[24:25], s[0:1], s13, v24, v[19:20]
	v_add_co_u32_e32 v16, vcc, v47, v16
	v_addc_co_u32_e32 v17, vcc, v48, v17, vcc
	v_add_u32_e32 v27, 0x1f8, v130
	v_mov_b32_e32 v19, v24
	v_mad_u64_u32 v[25:26], s[0:1], s12, v27, 0
	global_store_dwordx4 v[16:17], v[8:11], off
	s_nop 0
	v_lshlrev_b64 v[8:9], 4, v[18:19]
	v_mov_b32_e32 v10, v26
	v_add_co_u32_e32 v8, vcc, v47, v8
	v_addc_co_u32_e32 v9, vcc, v48, v9, vcc
	global_store_dwordx4 v[8:9], v[4:7], off
	v_add_u32_e32 v8, 0x237, v130
	v_mad_u64_u32 v[10:11], s[0:1], s13, v27, v[10:11]
	v_mad_u64_u32 v[6:7], s[0:1], s12, v8, 0
	v_mov_b32_e32 v26, v10
	v_add_u32_e32 v10, 0x276, v130
	v_mad_u64_u32 v[7:8], s[0:1], s13, v8, v[7:8]
	v_lshlrev_b64 v[4:5], 4, v[25:26]
	v_mad_u64_u32 v[8:9], s[0:1], s12, v10, 0
	v_add_co_u32_e32 v4, vcc, v47, v4
	v_addc_co_u32_e32 v5, vcc, v48, v5, vcc
	global_store_dwordx4 v[4:5], v[12:15], off
	v_lshlrev_b64 v[4:5], 4, v[6:7]
	v_mov_b32_e32 v6, v9
	v_mad_u64_u32 v[6:7], s[0:1], s13, v10, v[6:7]
	v_add_co_u32_e32 v4, vcc, v47, v4
	v_addc_co_u32_e32 v5, vcc, v48, v5, vcc
	v_mov_b32_e32 v9, v6
	global_store_dwordx4 v[4:5], v[20:23], off
	v_lshlrev_b64 v[4:5], 4, v[8:9]
	v_add_u32_e32 v8, 0x2b5, v130
	v_mad_u64_u32 v[6:7], s[0:1], s12, v8, 0
	v_add_u32_e32 v10, 0x2f4, v130
	v_add_co_u32_e32 v4, vcc, v47, v4
	v_mad_u64_u32 v[7:8], s[0:1], s13, v8, v[7:8]
	v_mad_u64_u32 v[8:9], s[0:1], s12, v10, 0
	v_addc_co_u32_e32 v5, vcc, v48, v5, vcc
	global_store_dwordx4 v[4:5], v[28:31], off
	v_lshlrev_b64 v[4:5], 4, v[6:7]
	v_mov_b32_e32 v6, v9
	v_mad_u64_u32 v[6:7], s[0:1], s13, v10, v[6:7]
	v_add_co_u32_e32 v4, vcc, v47, v4
	v_addc_co_u32_e32 v5, vcc, v48, v5, vcc
	v_mov_b32_e32 v9, v6
	global_store_dwordx4 v[4:5], v[135:138], off
	v_lshlrev_b64 v[4:5], 4, v[8:9]
	v_add_co_u32_e32 v4, vcc, v47, v4
	v_addc_co_u32_e32 v5, vcc, v48, v5, vcc
	global_store_dwordx4 v[4:5], v[0:3], off
	s_endpgm
	.section	.rodata,"a",@progbits
	.p2align	6, 0x0
	.amdhsa_kernel fft_rtc_fwd_len819_factors_9_7_13_wgs_117_tpt_117_dp_ip_CI_sbrr_dirReg
		.amdhsa_group_segment_fixed_size 0
		.amdhsa_private_segment_fixed_size 0
		.amdhsa_kernarg_size 88
		.amdhsa_user_sgpr_count 6
		.amdhsa_user_sgpr_private_segment_buffer 1
		.amdhsa_user_sgpr_dispatch_ptr 0
		.amdhsa_user_sgpr_queue_ptr 0
		.amdhsa_user_sgpr_kernarg_segment_ptr 1
		.amdhsa_user_sgpr_dispatch_id 0
		.amdhsa_user_sgpr_flat_scratch_init 0
		.amdhsa_user_sgpr_private_segment_size 0
		.amdhsa_uses_dynamic_stack 0
		.amdhsa_system_sgpr_private_segment_wavefront_offset 0
		.amdhsa_system_sgpr_workgroup_id_x 1
		.amdhsa_system_sgpr_workgroup_id_y 0
		.amdhsa_system_sgpr_workgroup_id_z 0
		.amdhsa_system_sgpr_workgroup_info 0
		.amdhsa_system_vgpr_workitem_id 0
		.amdhsa_next_free_vgpr 167
		.amdhsa_next_free_sgpr 42
		.amdhsa_reserve_vcc 1
		.amdhsa_reserve_flat_scratch 0
		.amdhsa_float_round_mode_32 0
		.amdhsa_float_round_mode_16_64 0
		.amdhsa_float_denorm_mode_32 3
		.amdhsa_float_denorm_mode_16_64 3
		.amdhsa_dx10_clamp 1
		.amdhsa_ieee_mode 1
		.amdhsa_fp16_overflow 0
		.amdhsa_exception_fp_ieee_invalid_op 0
		.amdhsa_exception_fp_denorm_src 0
		.amdhsa_exception_fp_ieee_div_zero 0
		.amdhsa_exception_fp_ieee_overflow 0
		.amdhsa_exception_fp_ieee_underflow 0
		.amdhsa_exception_fp_ieee_inexact 0
		.amdhsa_exception_int_div_zero 0
	.end_amdhsa_kernel
	.text
.Lfunc_end0:
	.size	fft_rtc_fwd_len819_factors_9_7_13_wgs_117_tpt_117_dp_ip_CI_sbrr_dirReg, .Lfunc_end0-fft_rtc_fwd_len819_factors_9_7_13_wgs_117_tpt_117_dp_ip_CI_sbrr_dirReg
                                        ; -- End function
	.section	.AMDGPU.csdata,"",@progbits
; Kernel info:
; codeLenInByte = 8940
; NumSgprs: 46
; NumVgprs: 167
; ScratchSize: 0
; MemoryBound: 1
; FloatMode: 240
; IeeeMode: 1
; LDSByteSize: 0 bytes/workgroup (compile time only)
; SGPRBlocks: 5
; VGPRBlocks: 41
; NumSGPRsForWavesPerEU: 46
; NumVGPRsForWavesPerEU: 167
; Occupancy: 1
; WaveLimiterHint : 1
; COMPUTE_PGM_RSRC2:SCRATCH_EN: 0
; COMPUTE_PGM_RSRC2:USER_SGPR: 6
; COMPUTE_PGM_RSRC2:TRAP_HANDLER: 0
; COMPUTE_PGM_RSRC2:TGID_X_EN: 1
; COMPUTE_PGM_RSRC2:TGID_Y_EN: 0
; COMPUTE_PGM_RSRC2:TGID_Z_EN: 0
; COMPUTE_PGM_RSRC2:TIDIG_COMP_CNT: 0
	.type	__hip_cuid_a736585b8000b93f,@object ; @__hip_cuid_a736585b8000b93f
	.section	.bss,"aw",@nobits
	.globl	__hip_cuid_a736585b8000b93f
__hip_cuid_a736585b8000b93f:
	.byte	0                               ; 0x0
	.size	__hip_cuid_a736585b8000b93f, 1

	.ident	"AMD clang version 19.0.0git (https://github.com/RadeonOpenCompute/llvm-project roc-6.4.0 25133 c7fe45cf4b819c5991fe208aaa96edf142730f1d)"
	.section	".note.GNU-stack","",@progbits
	.addrsig
	.addrsig_sym __hip_cuid_a736585b8000b93f
	.amdgpu_metadata
---
amdhsa.kernels:
  - .args:
      - .actual_access:  read_only
        .address_space:  global
        .offset:         0
        .size:           8
        .value_kind:     global_buffer
      - .offset:         8
        .size:           8
        .value_kind:     by_value
      - .actual_access:  read_only
        .address_space:  global
        .offset:         16
        .size:           8
        .value_kind:     global_buffer
      - .actual_access:  read_only
        .address_space:  global
        .offset:         24
        .size:           8
        .value_kind:     global_buffer
      - .offset:         32
        .size:           8
        .value_kind:     by_value
      - .actual_access:  read_only
        .address_space:  global
        .offset:         40
        .size:           8
        .value_kind:     global_buffer
      - .actual_access:  read_only
        .address_space:  global
        .offset:         48
        .size:           8
        .value_kind:     global_buffer
      - .offset:         56
        .size:           4
        .value_kind:     by_value
      - .actual_access:  read_only
        .address_space:  global
        .offset:         64
        .size:           8
        .value_kind:     global_buffer
      - .actual_access:  read_only
        .address_space:  global
        .offset:         72
        .size:           8
        .value_kind:     global_buffer
      - .address_space:  global
        .offset:         80
        .size:           8
        .value_kind:     global_buffer
    .group_segment_fixed_size: 0
    .kernarg_segment_align: 8
    .kernarg_segment_size: 88
    .language:       OpenCL C
    .language_version:
      - 2
      - 0
    .max_flat_workgroup_size: 117
    .name:           fft_rtc_fwd_len819_factors_9_7_13_wgs_117_tpt_117_dp_ip_CI_sbrr_dirReg
    .private_segment_fixed_size: 0
    .sgpr_count:     46
    .sgpr_spill_count: 0
    .symbol:         fft_rtc_fwd_len819_factors_9_7_13_wgs_117_tpt_117_dp_ip_CI_sbrr_dirReg.kd
    .uniform_work_group_size: 1
    .uses_dynamic_stack: false
    .vgpr_count:     167
    .vgpr_spill_count: 0
    .wavefront_size: 64
amdhsa.target:   amdgcn-amd-amdhsa--gfx906
amdhsa.version:
  - 1
  - 2
...

	.end_amdgpu_metadata
